;; amdgpu-corpus repo=ROCm/rocFFT kind=compiled arch=gfx1100 opt=O3
	.text
	.amdgcn_target "amdgcn-amd-amdhsa--gfx1100"
	.amdhsa_code_object_version 6
	.protected	fft_rtc_fwd_len162_factors_6_3_3_3_wgs_243_tpt_27_halfLds_sp_op_CI_CI_unitstride_sbrr_C2R_dirReg ; -- Begin function fft_rtc_fwd_len162_factors_6_3_3_3_wgs_243_tpt_27_halfLds_sp_op_CI_CI_unitstride_sbrr_C2R_dirReg
	.globl	fft_rtc_fwd_len162_factors_6_3_3_3_wgs_243_tpt_27_halfLds_sp_op_CI_CI_unitstride_sbrr_C2R_dirReg
	.p2align	8
	.type	fft_rtc_fwd_len162_factors_6_3_3_3_wgs_243_tpt_27_halfLds_sp_op_CI_CI_unitstride_sbrr_C2R_dirReg,@function
fft_rtc_fwd_len162_factors_6_3_3_3_wgs_243_tpt_27_halfLds_sp_op_CI_CI_unitstride_sbrr_C2R_dirReg: ; @fft_rtc_fwd_len162_factors_6_3_3_3_wgs_243_tpt_27_halfLds_sp_op_CI_CI_unitstride_sbrr_C2R_dirReg
; %bb.0:
	s_load_b128 s[8:11], s[0:1], 0x0
	v_mul_u32_u24_e32 v1, 0x97c, v0
	s_clause 0x1
	s_load_b128 s[4:7], s[0:1], 0x58
	s_load_b128 s[16:19], s[0:1], 0x18
	v_mov_b32_e32 v10, 0
	v_mov_b32_e32 v6, 0
	;; [unrolled: 1-line block ×3, first 2 shown]
	v_lshrrev_b32_e32 v1, 16, v1
	s_delay_alu instid0(VALU_DEP_1) | instskip(SKIP_1) | instid1(VALU_DEP_4)
	v_mad_u64_u32 v[8:9], null, s15, 9, v[1:2]
	v_mov_b32_e32 v9, v10
	v_dual_mov_b32 v1, v6 :: v_dual_mov_b32 v2, v7
	s_delay_alu instid0(VALU_DEP_2) | instskip(SKIP_2) | instid1(VALU_DEP_1)
	v_dual_mov_b32 v3, v8 :: v_dual_mov_b32 v4, v9
	s_waitcnt lgkmcnt(0)
	v_cmp_lt_u64_e64 s2, s[10:11], 2
	s_and_b32 vcc_lo, exec_lo, s2
	s_cbranch_vccnz .LBB0_8
; %bb.1:
	s_load_b64 s[2:3], s[0:1], 0x10
	v_dual_mov_b32 v6, 0 :: v_dual_mov_b32 v13, v9
	v_dual_mov_b32 v7, 0 :: v_dual_mov_b32 v12, v8
	s_add_u32 s12, s18, 8
	s_addc_u32 s13, s19, 0
	s_add_u32 s14, s16, 8
	s_delay_alu instid0(VALU_DEP_1)
	v_dual_mov_b32 v1, v6 :: v_dual_mov_b32 v2, v7
	s_addc_u32 s15, s17, 0
	s_mov_b64 s[22:23], 1
	s_waitcnt lgkmcnt(0)
	s_add_u32 s20, s2, 8
	s_addc_u32 s21, s3, 0
.LBB0_2:                                ; =>This Inner Loop Header: Depth=1
	s_load_b64 s[24:25], s[20:21], 0x0
                                        ; implicit-def: $vgpr3_vgpr4
	s_mov_b32 s2, exec_lo
	s_waitcnt lgkmcnt(0)
	v_or_b32_e32 v11, s25, v13
	s_delay_alu instid0(VALU_DEP_1)
	v_cmpx_ne_u64_e32 0, v[10:11]
	s_xor_b32 s3, exec_lo, s2
	s_cbranch_execz .LBB0_4
; %bb.3:                                ;   in Loop: Header=BB0_2 Depth=1
	v_cvt_f32_u32_e32 v3, s24
	v_cvt_f32_u32_e32 v4, s25
	s_sub_u32 s2, 0, s24
	s_subb_u32 s26, 0, s25
	s_delay_alu instid0(VALU_DEP_1) | instskip(NEXT) | instid1(VALU_DEP_1)
	v_fmac_f32_e32 v3, 0x4f800000, v4
	v_rcp_f32_e32 v3, v3
	s_waitcnt_depctr 0xfff
	v_mul_f32_e32 v3, 0x5f7ffffc, v3
	s_delay_alu instid0(VALU_DEP_1) | instskip(NEXT) | instid1(VALU_DEP_1)
	v_mul_f32_e32 v4, 0x2f800000, v3
	v_trunc_f32_e32 v4, v4
	s_delay_alu instid0(VALU_DEP_1) | instskip(SKIP_1) | instid1(VALU_DEP_2)
	v_fmac_f32_e32 v3, 0xcf800000, v4
	v_cvt_u32_f32_e32 v4, v4
	v_cvt_u32_f32_e32 v3, v3
	s_delay_alu instid0(VALU_DEP_2) | instskip(NEXT) | instid1(VALU_DEP_2)
	v_mul_lo_u32 v5, s2, v4
	v_mul_hi_u32 v9, s2, v3
	v_mul_lo_u32 v11, s26, v3
	s_delay_alu instid0(VALU_DEP_2) | instskip(SKIP_1) | instid1(VALU_DEP_2)
	v_add_nc_u32_e32 v5, v9, v5
	v_mul_lo_u32 v9, s2, v3
	v_add_nc_u32_e32 v5, v5, v11
	s_delay_alu instid0(VALU_DEP_2) | instskip(NEXT) | instid1(VALU_DEP_2)
	v_mul_hi_u32 v11, v3, v9
	v_mul_lo_u32 v14, v3, v5
	v_mul_hi_u32 v15, v3, v5
	v_mul_hi_u32 v16, v4, v9
	v_mul_lo_u32 v9, v4, v9
	v_mul_hi_u32 v17, v4, v5
	v_mul_lo_u32 v5, v4, v5
	v_add_co_u32 v11, vcc_lo, v11, v14
	v_add_co_ci_u32_e32 v14, vcc_lo, 0, v15, vcc_lo
	s_delay_alu instid0(VALU_DEP_2) | instskip(NEXT) | instid1(VALU_DEP_2)
	v_add_co_u32 v9, vcc_lo, v11, v9
	v_add_co_ci_u32_e32 v9, vcc_lo, v14, v16, vcc_lo
	v_add_co_ci_u32_e32 v11, vcc_lo, 0, v17, vcc_lo
	s_delay_alu instid0(VALU_DEP_2) | instskip(NEXT) | instid1(VALU_DEP_2)
	v_add_co_u32 v5, vcc_lo, v9, v5
	v_add_co_ci_u32_e32 v9, vcc_lo, 0, v11, vcc_lo
	s_delay_alu instid0(VALU_DEP_2) | instskip(NEXT) | instid1(VALU_DEP_2)
	v_add_co_u32 v3, vcc_lo, v3, v5
	v_add_co_ci_u32_e32 v4, vcc_lo, v4, v9, vcc_lo
	s_delay_alu instid0(VALU_DEP_2) | instskip(SKIP_1) | instid1(VALU_DEP_3)
	v_mul_hi_u32 v5, s2, v3
	v_mul_lo_u32 v11, s26, v3
	v_mul_lo_u32 v9, s2, v4
	s_delay_alu instid0(VALU_DEP_1) | instskip(SKIP_1) | instid1(VALU_DEP_2)
	v_add_nc_u32_e32 v5, v5, v9
	v_mul_lo_u32 v9, s2, v3
	v_add_nc_u32_e32 v5, v5, v11
	s_delay_alu instid0(VALU_DEP_2) | instskip(NEXT) | instid1(VALU_DEP_2)
	v_mul_hi_u32 v11, v3, v9
	v_mul_lo_u32 v14, v3, v5
	v_mul_hi_u32 v15, v3, v5
	v_mul_hi_u32 v16, v4, v9
	v_mul_lo_u32 v9, v4, v9
	v_mul_hi_u32 v17, v4, v5
	v_mul_lo_u32 v5, v4, v5
	v_add_co_u32 v11, vcc_lo, v11, v14
	v_add_co_ci_u32_e32 v14, vcc_lo, 0, v15, vcc_lo
	s_delay_alu instid0(VALU_DEP_2) | instskip(NEXT) | instid1(VALU_DEP_2)
	v_add_co_u32 v9, vcc_lo, v11, v9
	v_add_co_ci_u32_e32 v9, vcc_lo, v14, v16, vcc_lo
	v_add_co_ci_u32_e32 v11, vcc_lo, 0, v17, vcc_lo
	s_delay_alu instid0(VALU_DEP_2) | instskip(NEXT) | instid1(VALU_DEP_2)
	v_add_co_u32 v5, vcc_lo, v9, v5
	v_add_co_ci_u32_e32 v9, vcc_lo, 0, v11, vcc_lo
	s_delay_alu instid0(VALU_DEP_2) | instskip(NEXT) | instid1(VALU_DEP_2)
	v_add_co_u32 v5, vcc_lo, v3, v5
	v_add_co_ci_u32_e32 v9, vcc_lo, v4, v9, vcc_lo
	s_delay_alu instid0(VALU_DEP_2) | instskip(SKIP_1) | instid1(VALU_DEP_3)
	v_mul_hi_u32 v11, v12, v5
	v_mad_u64_u32 v[14:15], null, v13, v5, 0
	v_mad_u64_u32 v[3:4], null, v12, v9, 0
	v_mad_u64_u32 v[16:17], null, v13, v9, 0
	s_delay_alu instid0(VALU_DEP_2) | instskip(NEXT) | instid1(VALU_DEP_3)
	v_add_co_u32 v3, vcc_lo, v11, v3
	v_add_co_ci_u32_e32 v4, vcc_lo, 0, v4, vcc_lo
	s_delay_alu instid0(VALU_DEP_2) | instskip(NEXT) | instid1(VALU_DEP_2)
	v_add_co_u32 v3, vcc_lo, v3, v14
	v_add_co_ci_u32_e32 v3, vcc_lo, v4, v15, vcc_lo
	v_add_co_ci_u32_e32 v4, vcc_lo, 0, v17, vcc_lo
	s_delay_alu instid0(VALU_DEP_2) | instskip(NEXT) | instid1(VALU_DEP_2)
	v_add_co_u32 v5, vcc_lo, v3, v16
	v_add_co_ci_u32_e32 v9, vcc_lo, 0, v4, vcc_lo
	s_delay_alu instid0(VALU_DEP_2) | instskip(SKIP_1) | instid1(VALU_DEP_3)
	v_mul_lo_u32 v11, s25, v5
	v_mad_u64_u32 v[3:4], null, s24, v5, 0
	v_mul_lo_u32 v14, s24, v9
	s_delay_alu instid0(VALU_DEP_2) | instskip(NEXT) | instid1(VALU_DEP_2)
	v_sub_co_u32 v3, vcc_lo, v12, v3
	v_add3_u32 v4, v4, v14, v11
	s_delay_alu instid0(VALU_DEP_1) | instskip(NEXT) | instid1(VALU_DEP_1)
	v_sub_nc_u32_e32 v11, v13, v4
	v_subrev_co_ci_u32_e64 v11, s2, s25, v11, vcc_lo
	v_add_co_u32 v14, s2, v5, 2
	s_delay_alu instid0(VALU_DEP_1) | instskip(SKIP_3) | instid1(VALU_DEP_3)
	v_add_co_ci_u32_e64 v15, s2, 0, v9, s2
	v_sub_co_u32 v16, s2, v3, s24
	v_sub_co_ci_u32_e32 v4, vcc_lo, v13, v4, vcc_lo
	v_subrev_co_ci_u32_e64 v11, s2, 0, v11, s2
	v_cmp_le_u32_e32 vcc_lo, s24, v16
	s_delay_alu instid0(VALU_DEP_3) | instskip(SKIP_1) | instid1(VALU_DEP_4)
	v_cmp_eq_u32_e64 s2, s25, v4
	v_cndmask_b32_e64 v16, 0, -1, vcc_lo
	v_cmp_le_u32_e32 vcc_lo, s25, v11
	v_cndmask_b32_e64 v17, 0, -1, vcc_lo
	v_cmp_le_u32_e32 vcc_lo, s24, v3
	;; [unrolled: 2-line block ×3, first 2 shown]
	v_cndmask_b32_e64 v18, 0, -1, vcc_lo
	v_cmp_eq_u32_e32 vcc_lo, s25, v11
	s_delay_alu instid0(VALU_DEP_2) | instskip(SKIP_3) | instid1(VALU_DEP_3)
	v_cndmask_b32_e64 v3, v18, v3, s2
	v_cndmask_b32_e32 v11, v17, v16, vcc_lo
	v_add_co_u32 v16, vcc_lo, v5, 1
	v_add_co_ci_u32_e32 v17, vcc_lo, 0, v9, vcc_lo
	v_cmp_ne_u32_e32 vcc_lo, 0, v11
	s_delay_alu instid0(VALU_DEP_2) | instskip(SKIP_1) | instid1(VALU_DEP_2)
	v_dual_cndmask_b32 v4, v17, v15 :: v_dual_cndmask_b32 v11, v16, v14
	v_cmp_ne_u32_e32 vcc_lo, 0, v3
	v_cndmask_b32_e32 v4, v9, v4, vcc_lo
	s_delay_alu instid0(VALU_DEP_3)
	v_cndmask_b32_e32 v3, v5, v11, vcc_lo
.LBB0_4:                                ;   in Loop: Header=BB0_2 Depth=1
	s_and_not1_saveexec_b32 s2, s3
	s_cbranch_execz .LBB0_6
; %bb.5:                                ;   in Loop: Header=BB0_2 Depth=1
	v_cvt_f32_u32_e32 v3, s24
	s_sub_i32 s3, 0, s24
	s_delay_alu instid0(VALU_DEP_1) | instskip(SKIP_2) | instid1(VALU_DEP_1)
	v_rcp_iflag_f32_e32 v3, v3
	s_waitcnt_depctr 0xfff
	v_mul_f32_e32 v3, 0x4f7ffffe, v3
	v_cvt_u32_f32_e32 v3, v3
	s_delay_alu instid0(VALU_DEP_1) | instskip(NEXT) | instid1(VALU_DEP_1)
	v_mul_lo_u32 v4, s3, v3
	v_mul_hi_u32 v4, v3, v4
	s_delay_alu instid0(VALU_DEP_1) | instskip(NEXT) | instid1(VALU_DEP_1)
	v_add_nc_u32_e32 v3, v3, v4
	v_mul_hi_u32 v3, v12, v3
	s_delay_alu instid0(VALU_DEP_1) | instskip(SKIP_1) | instid1(VALU_DEP_2)
	v_mul_lo_u32 v4, v3, s24
	v_add_nc_u32_e32 v5, 1, v3
	v_sub_nc_u32_e32 v4, v12, v4
	s_delay_alu instid0(VALU_DEP_1) | instskip(SKIP_1) | instid1(VALU_DEP_2)
	v_subrev_nc_u32_e32 v9, s24, v4
	v_cmp_le_u32_e32 vcc_lo, s24, v4
	v_cndmask_b32_e32 v4, v4, v9, vcc_lo
	v_cndmask_b32_e32 v3, v3, v5, vcc_lo
	s_delay_alu instid0(VALU_DEP_2) | instskip(NEXT) | instid1(VALU_DEP_2)
	v_cmp_le_u32_e32 vcc_lo, s24, v4
	v_dual_mov_b32 v4, v10 :: v_dual_add_nc_u32 v5, 1, v3
	s_delay_alu instid0(VALU_DEP_1)
	v_cndmask_b32_e32 v3, v3, v5, vcc_lo
.LBB0_6:                                ;   in Loop: Header=BB0_2 Depth=1
	s_or_b32 exec_lo, exec_lo, s2
	s_delay_alu instid0(VALU_DEP_2) | instskip(NEXT) | instid1(VALU_DEP_2)
	v_mul_lo_u32 v5, v4, s24
	v_mul_lo_u32 v9, v3, s25
	s_load_b64 s[2:3], s[14:15], 0x0
	v_mad_u64_u32 v[14:15], null, v3, s24, 0
	s_load_b64 s[24:25], s[12:13], 0x0
	s_add_u32 s22, s22, 1
	s_addc_u32 s23, s23, 0
	s_add_u32 s12, s12, 8
	s_addc_u32 s13, s13, 0
	s_add_u32 s14, s14, 8
	s_delay_alu instid0(VALU_DEP_1) | instskip(SKIP_3) | instid1(VALU_DEP_2)
	v_add3_u32 v5, v15, v9, v5
	v_sub_co_u32 v9, vcc_lo, v12, v14
	s_addc_u32 s15, s15, 0
	s_add_u32 s20, s20, 8
	v_sub_co_ci_u32_e32 v5, vcc_lo, v13, v5, vcc_lo
	s_addc_u32 s21, s21, 0
	s_waitcnt lgkmcnt(0)
	s_delay_alu instid0(VALU_DEP_1)
	v_mul_lo_u32 v15, s2, v5
	v_mul_lo_u32 v16, s3, v9
	v_mad_u64_u32 v[11:12], null, s2, v9, v[6:7]
	v_mul_lo_u32 v5, s24, v5
	v_mul_lo_u32 v17, s25, v9
	v_mad_u64_u32 v[13:14], null, s24, v9, v[1:2]
	v_cmp_ge_u64_e64 s2, s[22:23], s[10:11]
	v_add3_u32 v7, v16, v12, v15
	s_delay_alu instid0(VALU_DEP_3) | instskip(NEXT) | instid1(VALU_DEP_4)
	v_dual_mov_b32 v6, v11 :: v_dual_mov_b32 v1, v13
	v_add3_u32 v2, v17, v14, v5
	s_delay_alu instid0(VALU_DEP_4)
	s_and_b32 vcc_lo, exec_lo, s2
	s_cbranch_vccnz .LBB0_8
; %bb.7:                                ;   in Loop: Header=BB0_2 Depth=1
	v_dual_mov_b32 v13, v4 :: v_dual_mov_b32 v12, v3
	s_branch .LBB0_2
.LBB0_8:
	s_load_b64 s[0:1], s[0:1], 0x28
	v_mul_hi_u32 v5, 0x38e38e39, v8
	v_mul_hi_u32 v9, 0x97b425f, v0
	s_lshl_b64 s[10:11], s[10:11], 3
	s_delay_alu instid0(SALU_CYCLE_1) | instskip(SKIP_1) | instid1(VALU_DEP_2)
	s_add_u32 s2, s18, s10
	s_addc_u32 s3, s19, s11
	v_lshrrev_b32_e32 v5, 1, v5
	s_delay_alu instid0(VALU_DEP_1) | instskip(NEXT) | instid1(VALU_DEP_1)
	v_lshl_add_u32 v5, v5, 3, v5
	v_sub_nc_u32_e32 v8, v8, v5
	s_waitcnt lgkmcnt(0)
	v_cmp_gt_u64_e32 vcc_lo, s[0:1], v[3:4]
	v_cmp_le_u64_e64 s0, s[0:1], v[3:4]
                                        ; implicit-def: $vgpr5
	s_delay_alu instid0(VALU_DEP_1) | instskip(NEXT) | instid1(SALU_CYCLE_1)
	s_and_saveexec_b32 s1, s0
	s_xor_b32 s0, exec_lo, s1
; %bb.9:
	v_mul_u32_u24_e32 v5, 27, v9
                                        ; implicit-def: $vgpr9
                                        ; implicit-def: $vgpr6_vgpr7
	s_delay_alu instid0(VALU_DEP_1)
	v_sub_nc_u32_e32 v5, v0, v5
                                        ; implicit-def: $vgpr0
; %bb.10:
	s_or_saveexec_b32 s1, s0
	s_load_b64 s[2:3], s[2:3], 0x0
	v_mul_u32_u24_e32 v8, 0xa3, v8
	s_delay_alu instid0(VALU_DEP_1)
	v_lshlrev_b32_e32 v11, 3, v8
	s_xor_b32 exec_lo, exec_lo, s1
	s_cbranch_execz .LBB0_14
; %bb.11:
	s_add_u32 s10, s16, s10
	s_addc_u32 s11, s17, s11
	v_lshlrev_b64 v[6:7], 3, v[6:7]
	s_load_b64 s[10:11], s[10:11], 0x0
	s_waitcnt lgkmcnt(0)
	v_mul_lo_u32 v5, s11, v3
	v_mul_lo_u32 v10, s10, v4
	v_mad_u64_u32 v[12:13], null, s10, v3, 0
	s_delay_alu instid0(VALU_DEP_1) | instskip(SKIP_1) | instid1(VALU_DEP_2)
	v_add3_u32 v13, v13, v10, v5
	v_mul_u32_u24_e32 v5, 27, v9
	v_lshlrev_b64 v[9:10], 3, v[12:13]
	s_delay_alu instid0(VALU_DEP_2) | instskip(NEXT) | instid1(VALU_DEP_1)
	v_sub_nc_u32_e32 v5, v0, v5
	v_lshlrev_b32_e32 v22, 3, v5
	s_delay_alu instid0(VALU_DEP_3) | instskip(NEXT) | instid1(VALU_DEP_1)
	v_add_co_u32 v0, s0, s4, v9
	v_add_co_ci_u32_e64 v9, s0, s5, v10, s0
	s_mov_b32 s4, exec_lo
	s_delay_alu instid0(VALU_DEP_2) | instskip(NEXT) | instid1(VALU_DEP_1)
	v_add_co_u32 v6, s0, v0, v6
	v_add_co_ci_u32_e64 v7, s0, v9, v7, s0
	v_add3_u32 v0, 0, v11, v22
	s_delay_alu instid0(VALU_DEP_3) | instskip(NEXT) | instid1(VALU_DEP_1)
	v_add_co_u32 v9, s0, v6, v22
	v_add_co_ci_u32_e64 v10, s0, 0, v7, s0
	s_clause 0x5
	global_load_b64 v[12:13], v[9:10], off
	global_load_b64 v[14:15], v[9:10], off offset:216
	global_load_b64 v[16:17], v[9:10], off offset:432
	;; [unrolled: 1-line block ×5, first 2 shown]
	s_waitcnt vmcnt(4)
	ds_store_2addr_b64 v0, v[12:13], v[14:15] offset1:27
	s_waitcnt vmcnt(2)
	ds_store_2addr_b64 v0, v[16:17], v[18:19] offset0:54 offset1:81
	s_waitcnt vmcnt(0)
	ds_store_2addr_b64 v0, v[20:21], v[9:10] offset0:108 offset1:135
	v_cmpx_eq_u32_e32 26, v5
	s_cbranch_execz .LBB0_13
; %bb.12:
	global_load_b64 v[6:7], v[6:7], off offset:1296
	v_mov_b32_e32 v5, 26
	s_waitcnt vmcnt(0)
	ds_store_b64 v0, v[6:7] offset:1088
.LBB0_13:
	s_or_b32 exec_lo, exec_lo, s4
.LBB0_14:
	s_delay_alu instid0(SALU_CYCLE_1)
	s_or_b32 exec_lo, exec_lo, s1
	v_lshl_add_u32 v0, v8, 3, 0
	v_lshlrev_b32_e32 v14, 3, v5
	s_waitcnt lgkmcnt(0)
	s_barrier
	buffer_gl0_inv
	s_mov_b32 s1, exec_lo
	v_add_nc_u32_e32 v12, v0, v14
	v_sub_nc_u32_e32 v13, v0, v14
                                        ; implicit-def: $vgpr9_vgpr10
	ds_load_b32 v15, v12
	ds_load_b32 v16, v13 offset:1296
	s_waitcnt lgkmcnt(0)
	v_dual_add_f32 v7, v16, v15 :: v_dual_sub_f32 v8, v15, v16
	v_cmpx_ne_u32_e32 0, v5
	s_xor_b32 s1, exec_lo, s1
	s_cbranch_execz .LBB0_16
; %bb.15:
	v_dual_mov_b32 v6, 0 :: v_dual_add_f32 v17, v16, v15
	s_delay_alu instid0(VALU_DEP_1) | instskip(NEXT) | instid1(VALU_DEP_1)
	v_lshlrev_b64 v[7:8], 3, v[5:6]
	v_add_co_u32 v7, s0, s8, v7
	s_delay_alu instid0(VALU_DEP_1)
	v_add_co_ci_u32_e64 v8, s0, s9, v8, s0
	global_load_b64 v[9:10], v[7:8], off offset:1248
	ds_load_b32 v7, v13 offset:1300
	ds_load_b32 v8, v12 offset:4
	v_sub_f32_e32 v18, v15, v16
	s_waitcnt lgkmcnt(0)
	v_add_f32_e32 v19, v7, v8
	v_sub_f32_e32 v7, v8, v7
	s_waitcnt vmcnt(0)
	s_delay_alu instid0(VALU_DEP_1) | instskip(SKIP_2) | instid1(VALU_DEP_3)
	v_fma_f32 v8, v19, v10, v7
	v_fma_f32 v15, -v18, v10, v17
	v_fma_f32 v20, v18, v10, v17
	v_fmac_f32_e32 v8, v18, v9
	v_fma_f32 v16, v19, v10, -v7
	s_delay_alu instid0(VALU_DEP_4) | instskip(NEXT) | instid1(VALU_DEP_4)
	v_fmac_f32_e32 v15, v9, v19
	v_fma_f32 v7, -v9, v19, v20
	s_delay_alu instid0(VALU_DEP_3)
	v_fmac_f32_e32 v16, v18, v9
	v_dual_mov_b32 v10, v6 :: v_dual_mov_b32 v9, v5
	ds_store_b64 v13, v[15:16] offset:1296
.LBB0_16:
	s_and_not1_saveexec_b32 s0, s1
	s_cbranch_execz .LBB0_18
; %bb.17:
	ds_load_b64 v[9:10], v0 offset:648
	s_waitcnt lgkmcnt(0)
	v_dual_add_f32 v15, v9, v9 :: v_dual_mul_f32 v16, -2.0, v10
	v_mov_b32_e32 v9, 0
	v_mov_b32_e32 v10, 0
	ds_store_b64 v0, v[15:16] offset:648
.LBB0_18:
	s_or_b32 exec_lo, exec_lo, s0
	v_lshlrev_b64 v[9:10], 3, v[9:10]
	s_add_u32 s0, s8, 0x4e0
	s_addc_u32 s1, s9, 0
	v_add_nc_u32_e32 v33, 27, v5
	s_delay_alu instid0(VALU_DEP_2) | instskip(NEXT) | instid1(VALU_DEP_1)
	v_add_co_u32 v9, s0, s0, v9
	v_add_co_ci_u32_e64 v10, s0, s1, v10, s0
	s_clause 0x1
	global_load_b64 v[15:16], v[9:10], off offset:216
	global_load_b64 v[9:10], v[9:10], off offset:432
	ds_store_b64 v12, v[7:8]
	ds_load_b64 v[6:7], v12 offset:216
	ds_load_b64 v[17:18], v13 offset:1080
	v_cmp_gt_u32_e64 s0, 18, v5
	s_waitcnt lgkmcnt(0)
	v_add_f32_e32 v19, v18, v7
	v_sub_f32_e32 v20, v6, v17
	v_add_f32_e32 v8, v6, v17
	v_sub_f32_e32 v6, v7, v18
	s_waitcnt vmcnt(1)
	s_delay_alu instid0(VALU_DEP_1) | instskip(SKIP_1) | instid1(VALU_DEP_2)
	v_fma_f32 v7, v19, v16, v6
	v_fma_f32 v18, v19, v16, -v6
	v_fmac_f32_e32 v7, v20, v15
	v_fma_f32 v17, -v20, v16, v8
	s_delay_alu instid0(VALU_DEP_1) | instskip(SKIP_2) | instid1(VALU_DEP_2)
	v_fmac_f32_e32 v17, v15, v19
	v_fma_f32 v21, v20, v16, v8
	v_fmac_f32_e32 v18, v20, v15
	v_fma_f32 v6, -v15, v19, v21
	ds_store_b64 v12, v[6:7] offset:216
	ds_store_b64 v13, v[17:18] offset:1080
	ds_load_b64 v[6:7], v12 offset:432
	ds_load_b64 v[15:16], v13 offset:864
	v_and_b32_e32 v8, 0xff, v5
	v_and_b32_e32 v21, 0xff, v33
	s_waitcnt lgkmcnt(0)
	v_add_f32_e32 v17, v6, v15
	s_delay_alu instid0(VALU_DEP_3) | instskip(SKIP_2) | instid1(VALU_DEP_3)
	v_mul_lo_u16 v8, 0xab, v8
	v_dual_add_f32 v18, v16, v7 :: v_dual_sub_f32 v7, v7, v16
	v_sub_f32_e32 v6, v6, v15
	v_lshrrev_b16 v22, 10, v8
	s_waitcnt vmcnt(0)
	s_delay_alu instid0(VALU_DEP_3) | instskip(NEXT) | instid1(VALU_DEP_3)
	v_fma_f32 v8, v18, v10, v7
	v_fma_f32 v19, v6, v10, v17
	v_fma_f32 v15, -v6, v10, v17
	v_fma_f32 v16, v18, v10, -v7
	v_mul_lo_u16 v10, 0xab, v21
	v_fmac_f32_e32 v8, v6, v9
	v_fma_f32 v7, -v9, v18, v19
	v_fmac_f32_e32 v15, v9, v18
	v_mul_lo_u16 v19, v22, 6
	v_lshrrev_b16 v25, 10, v10
	s_delay_alu instid0(VALU_DEP_2) | instskip(NEXT) | instid1(VALU_DEP_2)
	v_sub_nc_u16 v24, v5, v19
	v_mul_lo_u16 v23, v25, 6
	v_and_b32_e32 v39, 0xffff, v25
	s_delay_alu instid0(VALU_DEP_2) | instskip(SKIP_2) | instid1(VALU_DEP_4)
	v_sub_nc_u16 v23, v33, v23
	v_fmac_f32_e32 v16, v6, v9
	v_add3_u32 v6, 0, v14, v11
	v_mad_u32_u24 v39, 0x90, v39, 0
	s_delay_alu instid0(VALU_DEP_4)
	v_and_b32_e32 v35, 0xff, v23
	ds_store_b64 v12, v[7:8] offset:432
	ds_store_b64 v13, v[15:16] offset:864
	s_waitcnt lgkmcnt(0)
	s_barrier
	buffer_gl0_inv
	s_barrier
	buffer_gl0_inv
	ds_load_2addr_b64 v[7:10], v6 offset0:27 offset1:54
	ds_load_b64 v[17:18], v12
	ds_load_2addr_b64 v[13:16], v6 offset0:81 offset1:108
	ds_load_b64 v[19:20], v6 offset:1080
	v_and_b32_e32 v34, 0xff, v24
	v_lshlrev_b32_e32 v24, 4, v35
	v_mad_u32_u24 v36, v5, 40, v6
	s_waitcnt lgkmcnt(0)
	s_barrier
	buffer_gl0_inv
	v_add_f32_e32 v29, v18, v10
	v_add_f32_e32 v27, v9, v15
	v_dual_add_f32 v26, v17, v9 :: v_dual_lshlrev_b32 v23, 4, v34
	v_dual_sub_f32 v28, v10, v16 :: v_dual_sub_f32 v9, v9, v15
	v_dual_add_f32 v10, v10, v16 :: v_dual_add_f32 v31, v13, v19
	s_delay_alu instid0(VALU_DEP_4)
	v_fma_f32 v17, -0.5, v27, v17
	v_dual_add_f32 v30, v7, v13 :: v_dual_add_f32 v37, v8, v14
	v_dual_sub_f32 v32, v14, v20 :: v_dual_sub_f32 v13, v13, v19
	v_dual_add_f32 v15, v26, v15 :: v_dual_add_f32 v16, v29, v16
	v_fmac_f32_e32 v18, -0.5, v10
	v_fmamk_f32 v26, v28, 0x3f5db3d7, v17
	v_fmac_f32_e32 v17, 0xbf5db3d7, v28
	s_delay_alu instid0(VALU_DEP_3) | instskip(NEXT) | instid1(VALU_DEP_1)
	v_dual_add_f32 v14, v14, v20 :: v_dual_fmamk_f32 v27, v9, 0xbf5db3d7, v18
	v_fma_f32 v14, -0.5, v14, v8
	v_add_f32_e32 v10, v30, v19
	v_fma_f32 v19, -0.5, v31, v7
	s_delay_alu instid0(VALU_DEP_3) | instskip(SKIP_1) | instid1(VALU_DEP_3)
	v_fmamk_f32 v29, v13, 0xbf5db3d7, v14
	v_fmac_f32_e32 v14, 0x3f5db3d7, v13
	v_fmamk_f32 v28, v32, 0x3f5db3d7, v19
	v_fmac_f32_e32 v18, 0x3f5db3d7, v9
	v_fmac_f32_e32 v19, 0xbf5db3d7, v32
	v_dual_mul_f32 v30, 0x3f5db3d7, v29 :: v_dual_sub_f32 v9, v15, v10
	s_delay_alu instid0(VALU_DEP_4) | instskip(SKIP_1) | instid1(VALU_DEP_3)
	v_mul_f32_e32 v32, 0xbf5db3d7, v28
	v_dual_add_f32 v20, v37, v20 :: v_dual_add_f32 v7, v15, v10
	v_fmac_f32_e32 v30, 0.5, v28
	s_delay_alu instid0(VALU_DEP_3) | instskip(SKIP_1) | instid1(VALU_DEP_3)
	v_dual_fmac_f32 v32, 0.5, v29 :: v_dual_mul_f32 v31, -0.5, v19
	v_and_b32_e32 v29, 0xffff, v22
	v_add_f32_e32 v13, v26, v30
	v_dual_mul_f32 v37, -0.5, v14 :: v_dual_add_f32 v8, v16, v20
	s_delay_alu instid0(VALU_DEP_4) | instskip(NEXT) | instid1(VALU_DEP_4)
	v_dual_fmac_f32 v31, 0x3f5db3d7, v14 :: v_dual_add_f32 v14, v27, v32
	v_mad_u32_u24 v40, 0x90, v29, 0
	s_delay_alu instid0(VALU_DEP_3) | instskip(NEXT) | instid1(VALU_DEP_3)
	v_fmac_f32_e32 v37, 0xbf5db3d7, v19
	v_add_f32_e32 v15, v17, v31
	v_dual_sub_f32 v17, v17, v31 :: v_dual_sub_f32 v10, v16, v20
	v_sub_f32_e32 v19, v26, v30
	s_delay_alu instid0(VALU_DEP_4)
	v_add_f32_e32 v16, v18, v37
	v_sub_f32_e32 v20, v27, v32
	v_sub_f32_e32 v18, v18, v37
	ds_store_2addr_b64 v36, v[7:8], v[13:14] offset1:1
	ds_store_2addr_b64 v36, v[15:16], v[9:10] offset0:2 offset1:3
	ds_store_2addr_b64 v36, v[19:20], v[17:18] offset0:4 offset1:5
	s_waitcnt lgkmcnt(0)
	s_barrier
	buffer_gl0_inv
	s_clause 0x1
	global_load_b128 v[13:16], v23, s[8:9]
	global_load_b128 v[17:20], v24, s[8:9]
	v_subrev_nc_u32_e32 v7, 18, v5
	v_mul_lo_u16 v9, v21, 57
	v_mov_b32_e32 v8, 0
	ds_load_2addr_b64 v[21:24], v6 offset0:27 offset1:54
	ds_load_2addr_b64 v[25:28], v6 offset0:81 offset1:108
	v_cndmask_b32_e64 v37, v7, v5, s0
	v_lshrrev_b16 v38, 10, v9
	ds_load_b64 v[29:30], v12
	ds_load_b64 v[31:32], v6 offset:1080
	v_lshlrev_b32_e32 v34, 3, v34
	s_waitcnt vmcnt(0) lgkmcnt(0)
	v_lshlrev_b32_e32 v7, 1, v37
	s_barrier
	buffer_gl0_inv
	v_lshlrev_b64 v[9:10], 3, v[7:8]
	v_mul_lo_u16 v7, v38, 18
	s_delay_alu instid0(VALU_DEP_1) | instskip(NEXT) | instid1(VALU_DEP_3)
	v_sub_nc_u16 v7, v33, v7
	v_add_co_u32 v9, s0, s8, v9
	s_delay_alu instid0(VALU_DEP_1) | instskip(NEXT) | instid1(VALU_DEP_3)
	v_add_co_ci_u32_e64 v10, s0, s9, v10, s0
	v_and_b32_e32 v41, 0xff, v7
	v_lshlrev_b32_e32 v7, 3, v35
	v_cmp_lt_u32_e64 s0, 17, v5
	s_delay_alu instid0(VALU_DEP_3) | instskip(NEXT) | instid1(VALU_DEP_3)
	v_lshlrev_b32_e32 v35, 4, v41
	v_add3_u32 v7, v39, v7, v11
	v_mul_f32_e32 v39, v14, v24
	v_mul_f32_e32 v14, v14, v23
	v_add3_u32 v34, v40, v34, v11
	v_dual_mul_f32 v42, v18, v26 :: v_dual_mul_f32 v43, v20, v32
	v_mul_f32_e32 v18, v18, v25
	v_fma_f32 v23, v13, v23, -v39
	v_mul_f32_e32 v40, v16, v28
	v_fmac_f32_e32 v14, v13, v24
	s_delay_alu instid0(VALU_DEP_4) | instskip(NEXT) | instid1(VALU_DEP_3)
	v_fmac_f32_e32 v18, v17, v26
	v_fma_f32 v13, v15, v27, -v40
	s_delay_alu instid0(VALU_DEP_2) | instskip(NEXT) | instid1(VALU_DEP_1)
	v_dual_mul_f32 v16, v16, v27 :: v_dual_add_f32 v39, v22, v18
	v_fmac_f32_e32 v16, v15, v28
	v_mul_f32_e32 v20, v20, v31
	v_fma_f32 v15, v17, v25, -v42
	v_fma_f32 v17, v19, v31, -v43
	s_delay_alu instid0(VALU_DEP_1) | instskip(SKIP_3) | instid1(VALU_DEP_4)
	v_add_f32_e32 v31, v15, v17
	v_dual_sub_f32 v25, v14, v16 :: v_dual_add_f32 v28, v21, v15
	v_dual_fmac_f32 v20, v19, v32 :: v_dual_add_f32 v19, v29, v23
	v_add_f32_e32 v27, v14, v16
	v_fma_f32 v21, -0.5, v31, v21
	v_sub_f32_e32 v40, v15, v17
	s_delay_alu instid0(VALU_DEP_4)
	v_dual_add_f32 v15, v28, v17 :: v_dual_sub_f32 v32, v18, v20
	v_add_f32_e32 v24, v23, v13
	v_add_f32_e32 v18, v18, v20
	v_dual_add_f32 v26, v30, v14 :: v_dual_sub_f32 v23, v23, v13
	v_dual_add_f32 v13, v19, v13 :: v_dual_fmac_f32 v30, -0.5, v27
	v_fmamk_f32 v19, v32, 0x3f5db3d7, v21
	v_fma_f32 v29, -0.5, v24, v29
	v_fmac_f32_e32 v22, -0.5, v18
	v_dual_add_f32 v14, v26, v16 :: v_dual_and_b32 v31, 0xffff, v38
	v_fmamk_f32 v18, v23, 0xbf5db3d7, v30
	s_delay_alu instid0(VALU_DEP_4)
	v_fmamk_f32 v17, v25, 0x3f5db3d7, v29
	v_fmac_f32_e32 v29, 0xbf5db3d7, v25
	v_fmac_f32_e32 v30, 0x3f5db3d7, v23
	v_add_f32_e32 v16, v39, v20
	v_dual_fmac_f32 v21, 0xbf5db3d7, v32 :: v_dual_fmamk_f32 v20, v40, 0xbf5db3d7, v22
	v_fmac_f32_e32 v22, 0x3f5db3d7, v40
	ds_store_2addr_b64 v34, v[13:14], v[17:18] offset1:6
	ds_store_b64 v34, v[29:30] offset:96
	ds_store_2addr_b64 v7, v[15:16], v[19:20] offset1:6
	ds_store_b64 v7, v[21:22] offset:96
	s_waitcnt lgkmcnt(0)
	s_barrier
	buffer_gl0_inv
	s_clause 0x1
	global_load_b128 v[13:16], v[9:10], off offset:96
	global_load_b128 v[17:20], v35, s[8:9] offset:96
	ds_load_2addr_b64 v[21:24], v6 offset0:27 offset1:54
	v_cndmask_b32_e64 v9, 0, 0x1b0, s0
	v_lshlrev_b32_e32 v7, 1, v5
	ds_load_2addr_b64 v[25:28], v6 offset0:81 offset1:108
	v_lshlrev_b32_e32 v30, 3, v37
	v_mad_u32_u24 v37, 0x1b0, v31, 0
	v_add_nc_u32_e32 v29, 0, v9
	v_lshlrev_b64 v[9:10], 3, v[7:8]
	v_lshlrev_b32_e32 v7, 1, v33
	s_delay_alu instid0(VALU_DEP_3)
	v_add3_u32 v35, v29, v30, v11
	ds_load_b64 v[29:30], v12
	ds_load_b64 v[31:32], v6 offset:1080
	v_lshlrev_b64 v[33:34], 3, v[7:8]
	v_lshlrev_b32_e32 v7, 3, v41
	v_add_co_u32 v9, s0, s8, v9
	s_delay_alu instid0(VALU_DEP_1) | instskip(NEXT) | instid1(VALU_DEP_3)
	v_add_co_ci_u32_e64 v10, s0, s9, v10, s0
	v_add3_u32 v7, v37, v7, v11
	v_add_co_u32 v33, s0, s8, v33
	s_delay_alu instid0(VALU_DEP_1)
	v_add_co_ci_u32_e64 v34, s0, s9, v34, s0
	s_waitcnt vmcnt(0) lgkmcnt(0)
	s_barrier
	buffer_gl0_inv
	v_mul_f32_e32 v11, v14, v24
	v_dual_mul_f32 v37, v16, v28 :: v_dual_mul_f32 v38, v18, v26
	v_mul_f32_e32 v39, v20, v32
	s_delay_alu instid0(VALU_DEP_3) | instskip(SKIP_1) | instid1(VALU_DEP_1)
	v_fma_f32 v11, v13, v23, -v11
	v_mul_f32_e32 v14, v14, v23
	v_fmac_f32_e32 v14, v13, v24
	v_mul_f32_e32 v16, v16, v27
	v_fma_f32 v13, v15, v27, -v37
	v_mul_f32_e32 v20, v20, v31
	s_delay_alu instid0(VALU_DEP_3) | instskip(SKIP_1) | instid1(VALU_DEP_4)
	v_fmac_f32_e32 v16, v15, v28
	v_fma_f32 v15, v17, v25, -v38
	v_add_f32_e32 v23, v11, v13
	s_delay_alu instid0(VALU_DEP_4) | instskip(NEXT) | instid1(VALU_DEP_4)
	v_fmac_f32_e32 v20, v19, v32
	v_sub_f32_e32 v24, v14, v16
	s_delay_alu instid0(VALU_DEP_4) | instskip(NEXT) | instid1(VALU_DEP_1)
	v_dual_mul_f32 v18, v18, v25 :: v_dual_add_f32 v27, v21, v15
	v_fmac_f32_e32 v18, v17, v26
	v_fma_f32 v17, v19, v31, -v39
	v_add_f32_e32 v19, v11, v29
	v_fma_f32 v29, -0.5, v23, v29
	v_sub_f32_e32 v11, v11, v13
	s_delay_alu instid0(VALU_DEP_4)
	v_add_f32_e32 v28, v15, v17
	v_sub_f32_e32 v37, v15, v17
	v_add_f32_e32 v15, v27, v17
	v_fmamk_f32 v17, v24, 0x3f5db3d7, v29
	v_fmac_f32_e32 v29, 0xbf5db3d7, v24
	v_sub_f32_e32 v31, v18, v20
	v_fma_f32 v21, -0.5, v28, v21
	v_dual_add_f32 v13, v19, v13 :: v_dual_add_f32 v32, v22, v18
	v_add_f32_e32 v18, v18, v20
	v_add_f32_e32 v25, v14, v30
	s_delay_alu instid0(VALU_DEP_4) | instskip(SKIP_1) | instid1(VALU_DEP_4)
	v_fmamk_f32 v19, v31, 0x3f5db3d7, v21
	v_dual_fmac_f32 v21, 0xbf5db3d7, v31 :: v_dual_add_f32 v26, v14, v16
	v_fmac_f32_e32 v22, -0.5, v18
	s_delay_alu instid0(VALU_DEP_4) | instskip(SKIP_1) | instid1(VALU_DEP_4)
	v_add_f32_e32 v14, v25, v16
	v_add_f32_e32 v16, v32, v20
	v_fmac_f32_e32 v30, -0.5, v26
	s_delay_alu instid0(VALU_DEP_4) | instskip(SKIP_1) | instid1(VALU_DEP_3)
	v_fmamk_f32 v20, v37, 0xbf5db3d7, v22
	v_fmac_f32_e32 v22, 0x3f5db3d7, v37
	v_fmamk_f32 v18, v11, 0xbf5db3d7, v30
	v_fmac_f32_e32 v30, 0x3f5db3d7, v11
	ds_store_2addr_b64 v35, v[13:14], v[17:18] offset1:18
	ds_store_b64 v35, v[29:30] offset:288
	ds_store_2addr_b64 v7, v[15:16], v[19:20] offset1:18
	ds_store_b64 v7, v[21:22] offset:288
	s_waitcnt lgkmcnt(0)
	s_barrier
	buffer_gl0_inv
	s_clause 0x1
	global_load_b128 v[13:16], v[9:10], off offset:384
	global_load_b128 v[17:20], v[33:34], off offset:384
	ds_load_2addr_b64 v[21:24], v6 offset0:27 offset1:54
	ds_load_2addr_b64 v[25:28], v6 offset0:81 offset1:108
	ds_load_b64 v[9:10], v6 offset:1080
	ds_load_b64 v[11:12], v12
	v_mad_i32_i24 v7, 0xffffffd8, v5, v36
	s_waitcnt vmcnt(0) lgkmcnt(0)
	s_barrier
	buffer_gl0_inv
	v_dual_mul_f32 v30, v14, v24 :: v_dual_add_nc_u32 v29, 0x400, v7
	v_dual_mul_f32 v14, v14, v23 :: v_dual_mul_f32 v31, v16, v28
	v_mul_f32_e32 v16, v16, v27
	v_mul_f32_e32 v32, v18, v26
	v_dual_mul_f32 v18, v18, v25 :: v_dual_mul_f32 v33, v20, v10
	v_mul_f32_e32 v20, v20, v9
	v_fma_f32 v23, v13, v23, -v30
	v_fmac_f32_e32 v14, v13, v24
	v_fma_f32 v13, v15, v27, -v31
	v_fmac_f32_e32 v16, v15, v28
	;; [unrolled: 2-line block ×4, first 2 shown]
	v_dual_add_f32 v10, v23, v13 :: v_dual_sub_f32 v19, v14, v16
	v_add_f32_e32 v24, v14, v12
	v_dual_add_f32 v14, v14, v16 :: v_dual_add_f32 v9, v23, v11
	v_dual_add_f32 v25, v21, v15 :: v_dual_add_f32 v26, v15, v17
	v_sub_f32_e32 v27, v18, v20
	v_add_f32_e32 v28, v22, v18
	v_dual_add_f32 v18, v18, v20 :: v_dual_sub_f32 v23, v23, v13
	v_fma_f32 v11, -0.5, v10, v11
	v_fmac_f32_e32 v12, -0.5, v14
	v_sub_f32_e32 v30, v15, v17
	v_add_f32_e32 v9, v9, v13
	v_add_f32_e32 v13, v25, v17
	v_fma_f32 v17, -0.5, v26, v21
	v_fmac_f32_e32 v22, -0.5, v18
	v_add_f32_e32 v10, v24, v16
	v_dual_add_f32 v14, v28, v20 :: v_dual_fmamk_f32 v15, v19, 0x3f5db3d7, v11
	v_fmac_f32_e32 v11, 0xbf5db3d7, v19
	s_delay_alu instid0(VALU_DEP_4)
	v_fmamk_f32 v19, v30, 0xbf5db3d7, v22
	v_fmamk_f32 v16, v23, 0xbf5db3d7, v12
	v_fmac_f32_e32 v12, 0x3f5db3d7, v23
	v_fmamk_f32 v18, v27, 0x3f5db3d7, v17
	v_fmac_f32_e32 v17, 0xbf5db3d7, v27
	v_fmac_f32_e32 v22, 0x3f5db3d7, v30
	ds_store_2addr_b64 v6, v[9:10], v[13:14] offset1:27
	ds_store_2addr_b64 v6, v[15:16], v[11:12] offset0:54 offset1:108
	ds_store_2addr_b32 v7, v18, v19 offset0:162 offset1:163
	ds_store_2addr_b32 v29, v17, v22 offset0:14 offset1:15
	s_waitcnt lgkmcnt(0)
	s_barrier
	buffer_gl0_inv
	s_and_saveexec_b32 s0, vcc_lo
	s_cbranch_execz .LBB0_20
; %bb.19:
	v_mul_lo_u32 v6, s3, v3
	v_mul_lo_u32 v4, s2, v4
	v_mad_u64_u32 v[9:10], null, s2, v3, 0
	v_lshlrev_b64 v[11:12], 3, v[1:2]
	v_add_nc_u32_e32 v7, 27, v5
	s_delay_alu instid0(VALU_DEP_3) | instskip(SKIP_2) | instid1(VALU_DEP_4)
	v_add3_u32 v10, v10, v4, v6
	v_mov_b32_e32 v6, v8
	v_lshl_add_u32 v4, v5, 3, v0
	v_lshlrev_b64 v[15:16], 3, v[7:8]
	v_add_nc_u32_e32 v7, 54, v5
	v_lshlrev_b64 v[9:10], 3, v[9:10]
	v_lshlrev_b64 v[13:14], 3, v[5:6]
	ds_load_2addr_b64 v[0:3], v4 offset1:27
	v_lshlrev_b64 v[17:18], 3, v[7:8]
	v_add_nc_u32_e32 v7, 0x51, v5
	v_add_co_u32 v6, vcc_lo, s6, v9
	v_add_co_ci_u32_e32 v9, vcc_lo, s7, v10, vcc_lo
	s_delay_alu instid0(VALU_DEP_3) | instskip(NEXT) | instid1(VALU_DEP_3)
	v_lshlrev_b64 v[23:24], 3, v[7:8]
	v_add_co_u32 v27, vcc_lo, v6, v11
	s_delay_alu instid0(VALU_DEP_3)
	v_add_co_ci_u32_e32 v28, vcc_lo, v9, v12, vcc_lo
	ds_load_2addr_b64 v[9:12], v4 offset0:54 offset1:81
	v_add_co_u32 v19, vcc_lo, v27, v13
	v_add_co_ci_u32_e32 v20, vcc_lo, v28, v14, vcc_lo
	v_add_co_u32 v21, vcc_lo, v27, v15
	v_add_nc_u32_e32 v7, 0x6c, v5
	v_add_co_ci_u32_e32 v22, vcc_lo, v28, v16, vcc_lo
	ds_load_2addr_b64 v[13:16], v4 offset0:108 offset1:135
	v_add_co_u32 v17, vcc_lo, v27, v17
	v_lshlrev_b64 v[25:26], 3, v[7:8]
	v_add_nc_u32_e32 v7, 0x87, v5
	v_add_co_ci_u32_e32 v18, vcc_lo, v28, v18, vcc_lo
	v_add_co_u32 v4, vcc_lo, v27, v23
	s_delay_alu instid0(VALU_DEP_3) | instskip(SKIP_3) | instid1(VALU_DEP_4)
	v_lshlrev_b64 v[6:7], 3, v[7:8]
	v_add_co_ci_u32_e32 v5, vcc_lo, v28, v24, vcc_lo
	v_add_co_u32 v23, vcc_lo, v27, v25
	v_add_co_ci_u32_e32 v24, vcc_lo, v28, v26, vcc_lo
	v_add_co_u32 v6, vcc_lo, v27, v6
	v_add_co_ci_u32_e32 v7, vcc_lo, v28, v7, vcc_lo
	s_waitcnt lgkmcnt(2)
	s_clause 0x1
	global_store_b64 v[19:20], v[0:1], off
	global_store_b64 v[21:22], v[2:3], off
	s_waitcnt lgkmcnt(1)
	s_clause 0x1
	global_store_b64 v[17:18], v[9:10], off
	global_store_b64 v[4:5], v[11:12], off
	;; [unrolled: 4-line block ×3, first 2 shown]
.LBB0_20:
	s_nop 0
	s_sendmsg sendmsg(MSG_DEALLOC_VGPRS)
	s_endpgm
	.section	.rodata,"a",@progbits
	.p2align	6, 0x0
	.amdhsa_kernel fft_rtc_fwd_len162_factors_6_3_3_3_wgs_243_tpt_27_halfLds_sp_op_CI_CI_unitstride_sbrr_C2R_dirReg
		.amdhsa_group_segment_fixed_size 0
		.amdhsa_private_segment_fixed_size 0
		.amdhsa_kernarg_size 104
		.amdhsa_user_sgpr_count 15
		.amdhsa_user_sgpr_dispatch_ptr 0
		.amdhsa_user_sgpr_queue_ptr 0
		.amdhsa_user_sgpr_kernarg_segment_ptr 1
		.amdhsa_user_sgpr_dispatch_id 0
		.amdhsa_user_sgpr_private_segment_size 0
		.amdhsa_wavefront_size32 1
		.amdhsa_uses_dynamic_stack 0
		.amdhsa_enable_private_segment 0
		.amdhsa_system_sgpr_workgroup_id_x 1
		.amdhsa_system_sgpr_workgroup_id_y 0
		.amdhsa_system_sgpr_workgroup_id_z 0
		.amdhsa_system_sgpr_workgroup_info 0
		.amdhsa_system_vgpr_workitem_id 0
		.amdhsa_next_free_vgpr 44
		.amdhsa_next_free_sgpr 27
		.amdhsa_reserve_vcc 1
		.amdhsa_float_round_mode_32 0
		.amdhsa_float_round_mode_16_64 0
		.amdhsa_float_denorm_mode_32 3
		.amdhsa_float_denorm_mode_16_64 3
		.amdhsa_dx10_clamp 1
		.amdhsa_ieee_mode 1
		.amdhsa_fp16_overflow 0
		.amdhsa_workgroup_processor_mode 1
		.amdhsa_memory_ordered 1
		.amdhsa_forward_progress 0
		.amdhsa_shared_vgpr_count 0
		.amdhsa_exception_fp_ieee_invalid_op 0
		.amdhsa_exception_fp_denorm_src 0
		.amdhsa_exception_fp_ieee_div_zero 0
		.amdhsa_exception_fp_ieee_overflow 0
		.amdhsa_exception_fp_ieee_underflow 0
		.amdhsa_exception_fp_ieee_inexact 0
		.amdhsa_exception_int_div_zero 0
	.end_amdhsa_kernel
	.text
.Lfunc_end0:
	.size	fft_rtc_fwd_len162_factors_6_3_3_3_wgs_243_tpt_27_halfLds_sp_op_CI_CI_unitstride_sbrr_C2R_dirReg, .Lfunc_end0-fft_rtc_fwd_len162_factors_6_3_3_3_wgs_243_tpt_27_halfLds_sp_op_CI_CI_unitstride_sbrr_C2R_dirReg
                                        ; -- End function
	.section	.AMDGPU.csdata,"",@progbits
; Kernel info:
; codeLenInByte = 4676
; NumSgprs: 29
; NumVgprs: 44
; ScratchSize: 0
; MemoryBound: 0
; FloatMode: 240
; IeeeMode: 1
; LDSByteSize: 0 bytes/workgroup (compile time only)
; SGPRBlocks: 3
; VGPRBlocks: 5
; NumSGPRsForWavesPerEU: 29
; NumVGPRsForWavesPerEU: 44
; Occupancy: 16
; WaveLimiterHint : 1
; COMPUTE_PGM_RSRC2:SCRATCH_EN: 0
; COMPUTE_PGM_RSRC2:USER_SGPR: 15
; COMPUTE_PGM_RSRC2:TRAP_HANDLER: 0
; COMPUTE_PGM_RSRC2:TGID_X_EN: 1
; COMPUTE_PGM_RSRC2:TGID_Y_EN: 0
; COMPUTE_PGM_RSRC2:TGID_Z_EN: 0
; COMPUTE_PGM_RSRC2:TIDIG_COMP_CNT: 0
	.text
	.p2alignl 7, 3214868480
	.fill 96, 4, 3214868480
	.type	__hip_cuid_d0e6f6d94f029383,@object ; @__hip_cuid_d0e6f6d94f029383
	.section	.bss,"aw",@nobits
	.globl	__hip_cuid_d0e6f6d94f029383
__hip_cuid_d0e6f6d94f029383:
	.byte	0                               ; 0x0
	.size	__hip_cuid_d0e6f6d94f029383, 1

	.ident	"AMD clang version 19.0.0git (https://github.com/RadeonOpenCompute/llvm-project roc-6.4.0 25133 c7fe45cf4b819c5991fe208aaa96edf142730f1d)"
	.section	".note.GNU-stack","",@progbits
	.addrsig
	.addrsig_sym __hip_cuid_d0e6f6d94f029383
	.amdgpu_metadata
---
amdhsa.kernels:
  - .args:
      - .actual_access:  read_only
        .address_space:  global
        .offset:         0
        .size:           8
        .value_kind:     global_buffer
      - .offset:         8
        .size:           8
        .value_kind:     by_value
      - .actual_access:  read_only
        .address_space:  global
        .offset:         16
        .size:           8
        .value_kind:     global_buffer
      - .actual_access:  read_only
        .address_space:  global
        .offset:         24
        .size:           8
        .value_kind:     global_buffer
      - .actual_access:  read_only
        .address_space:  global
        .offset:         32
        .size:           8
        .value_kind:     global_buffer
      - .offset:         40
        .size:           8
        .value_kind:     by_value
      - .actual_access:  read_only
        .address_space:  global
        .offset:         48
        .size:           8
        .value_kind:     global_buffer
      - .actual_access:  read_only
        .address_space:  global
        .offset:         56
        .size:           8
        .value_kind:     global_buffer
      - .offset:         64
        .size:           4
        .value_kind:     by_value
      - .actual_access:  read_only
        .address_space:  global
        .offset:         72
        .size:           8
        .value_kind:     global_buffer
      - .actual_access:  read_only
        .address_space:  global
        .offset:         80
        .size:           8
        .value_kind:     global_buffer
      - .actual_access:  read_only
        .address_space:  global
        .offset:         88
        .size:           8
        .value_kind:     global_buffer
      - .actual_access:  write_only
        .address_space:  global
        .offset:         96
        .size:           8
        .value_kind:     global_buffer
    .group_segment_fixed_size: 0
    .kernarg_segment_align: 8
    .kernarg_segment_size: 104
    .language:       OpenCL C
    .language_version:
      - 2
      - 0
    .max_flat_workgroup_size: 243
    .name:           fft_rtc_fwd_len162_factors_6_3_3_3_wgs_243_tpt_27_halfLds_sp_op_CI_CI_unitstride_sbrr_C2R_dirReg
    .private_segment_fixed_size: 0
    .sgpr_count:     29
    .sgpr_spill_count: 0
    .symbol:         fft_rtc_fwd_len162_factors_6_3_3_3_wgs_243_tpt_27_halfLds_sp_op_CI_CI_unitstride_sbrr_C2R_dirReg.kd
    .uniform_work_group_size: 1
    .uses_dynamic_stack: false
    .vgpr_count:     44
    .vgpr_spill_count: 0
    .wavefront_size: 32
    .workgroup_processor_mode: 1
amdhsa.target:   amdgcn-amd-amdhsa--gfx1100
amdhsa.version:
  - 1
  - 2
...

	.end_amdgpu_metadata
